;; amdgpu-corpus repo=ROCm/rocFFT kind=compiled arch=gfx906 opt=O3
	.text
	.amdgcn_target "amdgcn-amd-amdhsa--gfx906"
	.amdhsa_code_object_version 6
	.protected	fft_rtc_fwd_len216_factors_2_6_9_2_wgs_144_tpt_18_dim3_sp_ip_CI_sbcc_twdbase8_3step_dirReg ; -- Begin function fft_rtc_fwd_len216_factors_2_6_9_2_wgs_144_tpt_18_dim3_sp_ip_CI_sbcc_twdbase8_3step_dirReg
	.globl	fft_rtc_fwd_len216_factors_2_6_9_2_wgs_144_tpt_18_dim3_sp_ip_CI_sbcc_twdbase8_3step_dirReg
	.p2align	8
	.type	fft_rtc_fwd_len216_factors_2_6_9_2_wgs_144_tpt_18_dim3_sp_ip_CI_sbcc_twdbase8_3step_dirReg,@function
fft_rtc_fwd_len216_factors_2_6_9_2_wgs_144_tpt_18_dim3_sp_ip_CI_sbcc_twdbase8_3step_dirReg: ; @fft_rtc_fwd_len216_factors_2_6_9_2_wgs_144_tpt_18_dim3_sp_ip_CI_sbcc_twdbase8_3step_dirReg
; %bb.0:
	s_load_dwordx4 s[0:3], s[4:5], 0x10
	s_mov_b32 s7, 0
	s_mov_b64 s[20:21], 0
	s_waitcnt lgkmcnt(0)
	s_load_dwordx2 s[16:17], s[0:1], 0x8
	s_waitcnt lgkmcnt(0)
	s_add_u32 s8, s16, -1
	s_addc_u32 s9, s17, -1
	s_lshr_b64 s[8:9], s[8:9], 3
	s_add_u32 s18, s8, 1
	s_addc_u32 s19, s9, 0
	v_mov_b32_e32 v1, s18
	v_mov_b32_e32 v2, s19
	v_cmp_lt_u64_e32 vcc, s[6:7], v[1:2]
	s_cbranch_vccnz .LBB0_2
; %bb.1:
	v_cvt_f32_u32_e32 v1, s18
	s_sub_i32 s8, 0, s18
	s_mov_b32 s21, s7
	v_rcp_iflag_f32_e32 v1, v1
	v_mul_f32_e32 v1, 0x4f7ffffe, v1
	v_cvt_u32_f32_e32 v1, v1
	v_readfirstlane_b32 s9, v1
	s_mul_i32 s8, s8, s9
	s_mul_hi_u32 s8, s9, s8
	s_add_i32 s9, s9, s8
	s_mul_hi_u32 s8, s6, s9
	s_mul_i32 s10, s8, s18
	s_sub_i32 s10, s6, s10
	s_add_i32 s9, s8, 1
	s_sub_i32 s11, s10, s18
	s_cmp_ge_u32 s10, s18
	s_cselect_b32 s8, s9, s8
	s_cselect_b32 s10, s11, s10
	s_add_i32 s9, s8, 1
	s_cmp_ge_u32 s10, s18
	s_cselect_b32 s20, s9, s8
.LBB0_2:
	s_load_dwordx2 s[8:9], s[0:1], 0x10
	s_load_dwordx2 s[10:11], s[2:3], 0x8
	s_mov_b64 s[0:1], s[20:21]
	s_waitcnt lgkmcnt(0)
	v_mov_b32_e32 v1, s8
	v_mov_b32_e32 v2, s9
	v_cmp_lt_u64_e32 vcc, s[20:21], v[1:2]
	s_cbranch_vccnz .LBB0_4
; %bb.3:
	v_cvt_f32_u32_e32 v1, s8
	s_sub_i32 s0, 0, s8
	v_rcp_iflag_f32_e32 v1, v1
	v_mul_f32_e32 v1, 0x4f7ffffe, v1
	v_cvt_u32_f32_e32 v1, v1
	v_readfirstlane_b32 s1, v1
	s_mul_i32 s0, s0, s1
	s_mul_hi_u32 s0, s1, s0
	s_add_i32 s1, s1, s0
	s_mul_hi_u32 s0, s20, s1
	s_mul_i32 s0, s0, s8
	s_sub_i32 s0, s20, s0
	s_sub_i32 s1, s0, s8
	s_cmp_ge_u32 s0, s8
	s_cselect_b32 s0, s1, s0
	s_sub_i32 s1, s0, s8
	s_cmp_ge_u32 s0, s8
	s_cselect_b32 s0, s1, s0
.LBB0_4:
	s_mul_i32 s1, s8, s19
	s_mul_hi_u32 s14, s8, s18
	s_add_i32 s1, s14, s1
	s_mul_i32 s9, s9, s18
	s_mul_i32 s14, s8, s18
	s_load_dwordx2 s[12:13], s[4:5], 0x50
	s_add_i32 s15, s1, s9
	s_load_dwordx2 s[8:9], s[2:3], 0x0
	s_load_dwordx2 s[22:23], s[2:3], 0x10
	v_mov_b32_e32 v1, s14
	v_mov_b32_e32 v2, s15
	v_cmp_lt_u64_e32 vcc, s[6:7], v[1:2]
	s_mov_b64 s[24:25], 0
	s_cbranch_vccnz .LBB0_6
; %bb.5:
	v_cvt_f32_u32_e32 v1, s14
	s_sub_i32 s1, 0, s14
	v_rcp_iflag_f32_e32 v1, v1
	v_mul_f32_e32 v1, 0x4f7ffffe, v1
	v_cvt_u32_f32_e32 v1, v1
	v_readfirstlane_b32 s7, v1
	s_mul_i32 s1, s1, s7
	s_mul_hi_u32 s1, s7, s1
	s_add_i32 s7, s7, s1
	s_mul_hi_u32 s1, s6, s7
	s_mul_i32 s15, s1, s14
	s_sub_i32 s15, s6, s15
	s_add_i32 s7, s1, 1
	s_sub_i32 s21, s15, s14
	s_cmp_ge_u32 s15, s14
	s_cselect_b32 s1, s7, s1
	s_cselect_b32 s15, s21, s15
	s_add_i32 s7, s1, 1
	s_cmp_ge_u32 s15, s14
	s_cselect_b32 s24, s7, s1
.LBB0_6:
	s_mul_i32 s1, s20, s19
	s_mul_hi_u32 s7, s20, s18
	s_add_i32 s7, s7, s1
	s_mul_i32 s1, s20, s18
	s_sub_u32 s6, s6, s1
	s_subb_u32 s7, 0, s7
	v_mov_b32_e32 v1, s6
	v_alignbit_b32 v1, s7, v1, 29
	s_load_dwordx2 s[2:3], s[2:3], 0x18
	s_lshl_b64 s[18:19], s[6:7], 3
	v_readfirstlane_b32 s1, v1
	s_mul_i32 s1, s10, s1
	s_mul_hi_u32 s6, s10, s18
	s_add_i32 s1, s6, s1
	s_mul_i32 s6, s11, s18
	s_waitcnt lgkmcnt(0)
	s_mul_i32 s7, s23, s0
	s_mul_hi_u32 s20, s22, s0
	s_add_i32 s1, s1, s6
	s_mul_i32 s6, s10, s18
	s_add_i32 s20, s20, s7
	s_mul_i32 s0, s22, s0
	s_add_u32 s0, s0, s6
	s_mul_i32 s3, s3, s24
	s_mul_hi_u32 s6, s2, s24
	s_addc_u32 s1, s20, s1
	s_add_i32 s6, s6, s3
	s_mul_i32 s2, s2, s24
	s_add_u32 s2, s2, s0
	s_addc_u32 s3, s6, s1
	s_load_dwordx2 s[14:15], s[4:5], 0x0
	s_add_u32 s6, s18, 8
	v_mov_b32_e32 v1, s16
	s_addc_u32 s7, s19, 0
	v_mov_b32_e32 v2, s17
	v_cmp_gt_u64_e32 vcc, s[6:7], v[1:2]
	v_and_b32_e32 v39, 7, v0
	v_cmp_le_u64_e64 s[0:1], s[6:7], v[1:2]
	v_or_b32_e32 v33, s18, v39
	v_mov_b32_e32 v34, s19
	v_lshrrev_b32_e32 v44, 3, v0
	s_cbranch_vccz .LBB0_12
; %bb.7:
	v_cmp_le_u64_e32 vcc, s[16:17], v[33:34]
                                        ; implicit-def: $vgpr40
                                        ; implicit-def: $vgpr41
                                        ; implicit-def: $vgpr42
                                        ; implicit-def: $vgpr43
                                        ; implicit-def: $vgpr45
	s_and_saveexec_b64 s[6:7], vcc
	s_xor_b64 s[6:7], exec, s[6:7]
; %bb.8:
	v_add_u32_e32 v40, 18, v44
	v_add_u32_e32 v41, 36, v44
	;; [unrolled: 1-line block ×5, first 2 shown]
; %bb.9:
	s_or_saveexec_b64 s[6:7], s[6:7]
                                        ; implicit-def: $vgpr9
                                        ; implicit-def: $vgpr11
                                        ; implicit-def: $vgpr19
                                        ; implicit-def: $vgpr15
                                        ; implicit-def: $vgpr23
                                        ; implicit-def: $vgpr21
                                        ; implicit-def: $vgpr13
                                        ; implicit-def: $vgpr17
                                        ; implicit-def: $vgpr3
                                        ; implicit-def: $vgpr1
                                        ; implicit-def: $vgpr7
                                        ; implicit-def: $vgpr5
	s_xor_b64 exec, exec, s[6:7]
	s_cbranch_execz .LBB0_11
; %bb.10:
	v_mad_u64_u32 v[1:2], s[18:19], s10, v39, 0
	v_mad_u64_u32 v[3:4], s[18:19], s8, v44, 0
	v_add_u32_e32 v8, 0x6c, v44
	v_add_u32_e32 v40, 18, v44
	v_mad_u64_u32 v[5:6], s[18:19], s11, v39, v[2:3]
	v_mov_b32_e32 v2, v4
	v_mad_u64_u32 v[6:7], s[18:19], s9, v44, v[2:3]
	s_lshl_b64 s[18:19], s[2:3], 3
	s_add_u32 s20, s12, s18
	s_addc_u32 s18, s13, s19
	v_mov_b32_e32 v2, v5
	v_mov_b32_e32 v4, v6
	;; [unrolled: 1-line block ×3, first 2 shown]
	v_mad_u64_u32 v[5:6], s[18:19], s8, v8, 0
	v_lshlrev_b64 v[1:2], 3, v[1:2]
	v_add_u32_e32 v41, 36, v44
	v_add_co_u32_e32 v37, vcc, s20, v1
	v_addc_co_u32_e32 v38, vcc, v7, v2, vcc
	v_lshlrev_b64 v[1:2], 3, v[3:4]
	v_mov_b32_e32 v3, v6
	v_mad_u64_u32 v[3:4], s[18:19], s9, v8, v[3:4]
	v_mad_u64_u32 v[7:8], s[18:19], s8, v40, 0
	v_add_co_u32_e32 v9, vcc, v37, v1
	v_mov_b32_e32 v6, v3
	v_mov_b32_e32 v3, v8
	v_addc_co_u32_e32 v10, vcc, v38, v2, vcc
	v_lshlrev_b64 v[1:2], 3, v[5:6]
	v_mad_u64_u32 v[3:4], s[18:19], s9, v40, v[3:4]
	v_add_u32_e32 v6, 0x7e, v44
	v_mad_u64_u32 v[4:5], s[18:19], s8, v6, 0
	v_mov_b32_e32 v8, v3
	v_add_co_u32_e32 v11, vcc, v37, v1
	v_mov_b32_e32 v3, v5
	v_mad_u64_u32 v[5:6], s[18:19], s9, v6, v[3:4]
	v_addc_co_u32_e32 v12, vcc, v38, v2, vcc
	v_lshlrev_b64 v[1:2], 3, v[7:8]
	v_mad_u64_u32 v[15:16], s[18:19], s8, v41, 0
	v_add_co_u32_e32 v13, vcc, v37, v1
	v_addc_co_u32_e32 v14, vcc, v38, v2, vcc
	v_lshlrev_b64 v[1:2], 3, v[4:5]
	v_add_u32_e32 v22, 0x90, v44
	v_add_co_u32_e32 v17, vcc, v37, v1
	v_mov_b32_e32 v1, v16
	v_mad_u64_u32 v[19:20], s[18:19], s9, v41, v[1:2]
	v_mad_u64_u32 v[20:21], s[18:19], s8, v22, 0
	v_addc_co_u32_e32 v18, vcc, v38, v2, vcc
	global_load_dwordx2 v[5:6], v[9:10], off
	global_load_dwordx2 v[7:8], v[11:12], off
	;; [unrolled: 1-line block ×4, first 2 shown]
	v_mov_b32_e32 v11, v21
	v_mad_u64_u32 v[11:12], s[18:19], s9, v22, v[11:12]
	v_add_u32_e32 v42, 54, v44
	v_mad_u64_u32 v[12:13], s[18:19], s8, v42, 0
	v_mov_b32_e32 v21, v11
	v_mov_b32_e32 v16, v19
	;; [unrolled: 1-line block ×3, first 2 shown]
	v_mad_u64_u32 v[13:14], s[18:19], s9, v42, v[11:12]
	v_lshlrev_b64 v[9:10], 3, v[15:16]
	v_add_u32_e32 v14, 0xa2, v44
	v_mad_u64_u32 v[17:18], s[18:19], s8, v14, 0
	v_add_co_u32_e32 v15, vcc, v37, v9
	v_addc_co_u32_e32 v16, vcc, v38, v10, vcc
	v_lshlrev_b64 v[9:10], 3, v[20:21]
	v_mov_b32_e32 v11, v18
	v_add_co_u32_e32 v19, vcc, v37, v9
	v_addc_co_u32_e32 v20, vcc, v38, v10, vcc
	v_lshlrev_b64 v[9:10], 3, v[12:13]
	v_mad_u64_u32 v[11:12], s[18:19], s9, v14, v[11:12]
	v_add_u32_e32 v43, 0x48, v44
	v_mad_u64_u32 v[12:13], s[18:19], s8, v43, 0
	v_mov_b32_e32 v18, v11
	v_add_co_u32_e32 v21, vcc, v37, v9
	v_mov_b32_e32 v11, v13
	v_mad_u64_u32 v[13:14], s[18:19], s9, v43, v[11:12]
	v_add_u32_e32 v14, 0xb4, v44
	v_addc_co_u32_e32 v22, vcc, v38, v10, vcc
	v_lshlrev_b64 v[9:10], 3, v[17:18]
	v_mad_u64_u32 v[17:18], s[18:19], s8, v14, 0
	v_add_co_u32_e32 v23, vcc, v37, v9
	v_mov_b32_e32 v11, v18
	v_addc_co_u32_e32 v24, vcc, v38, v10, vcc
	v_lshlrev_b64 v[9:10], 3, v[12:13]
	v_mad_u64_u32 v[11:12], s[18:19], s9, v14, v[11:12]
	v_add_u32_e32 v45, 0x5a, v44
	v_mad_u64_u32 v[12:13], s[18:19], s8, v45, 0
	v_mov_b32_e32 v18, v11
	v_add_co_u32_e32 v25, vcc, v37, v9
	v_mov_b32_e32 v11, v13
	v_mad_u64_u32 v[13:14], s[18:19], s9, v45, v[11:12]
	v_addc_co_u32_e32 v26, vcc, v38, v10, vcc
	v_lshlrev_b64 v[9:10], 3, v[17:18]
	v_add_u32_e32 v11, 0xc6, v44
	v_mad_u64_u32 v[29:30], s[18:19], s8, v11, 0
	v_add_co_u32_e32 v27, vcc, v37, v9
	v_addc_co_u32_e32 v28, vcc, v38, v10, vcc
	v_lshlrev_b64 v[9:10], 3, v[12:13]
	v_add_co_u32_e32 v31, vcc, v37, v9
	v_mov_b32_e32 v9, v30
	v_mad_u64_u32 v[35:36], s[18:19], s9, v11, v[9:10]
	v_addc_co_u32_e32 v32, vcc, v38, v10, vcc
	v_mov_b32_e32 v30, v35
	global_load_dwordx2 v[17:18], v[15:16], off
	global_load_dwordx2 v[9:10], v[19:20], off
	global_load_dwordx2 v[13:14], v[21:22], off
	global_load_dwordx2 v[11:12], v[23:24], off
	v_lshlrev_b64 v[15:16], 3, v[29:30]
	v_add_co_u32_e32 v29, vcc, v37, v15
	v_addc_co_u32_e32 v30, vcc, v38, v16, vcc
	global_load_dwordx2 v[21:22], v[25:26], off
	global_load_dwordx2 v[23:24], v[27:28], off
	;; [unrolled: 1-line block ×4, first 2 shown]
.LBB0_11:
	s_or_b64 exec, exec, s[6:7]
	s_cbranch_execz .LBB0_13
	s_branch .LBB0_14
.LBB0_12:
                                        ; implicit-def: $vgpr9
                                        ; implicit-def: $vgpr11
                                        ; implicit-def: $vgpr19
                                        ; implicit-def: $vgpr15
                                        ; implicit-def: $vgpr23
                                        ; implicit-def: $vgpr21
                                        ; implicit-def: $vgpr13
                                        ; implicit-def: $vgpr17
                                        ; implicit-def: $vgpr40
                                        ; implicit-def: $vgpr41
                                        ; implicit-def: $vgpr42
                                        ; implicit-def: $vgpr43
                                        ; implicit-def: $vgpr45
                                        ; implicit-def: $vgpr3
                                        ; implicit-def: $vgpr1
                                        ; implicit-def: $vgpr7
                                        ; implicit-def: $vgpr5
.LBB0_13:
	s_waitcnt vmcnt(9)
	v_mad_u64_u32 v[1:2], s[6:7], s10, v39, 0
	s_waitcnt vmcnt(8)
	v_mad_u64_u32 v[3:4], s[6:7], s8, v44, 0
	v_add_u32_e32 v8, 0x6c, v44
	v_add_u32_e32 v40, 18, v44
	v_mad_u64_u32 v[5:6], s[6:7], s11, v39, v[2:3]
	v_mov_b32_e32 v2, v4
	v_mad_u64_u32 v[6:7], s[6:7], s9, v44, v[2:3]
	s_lshl_b64 s[6:7], s[2:3], 3
	s_add_u32 s18, s12, s6
	s_addc_u32 s6, s13, s7
	v_mov_b32_e32 v2, v5
	v_mov_b32_e32 v4, v6
	;; [unrolled: 1-line block ×3, first 2 shown]
	v_mad_u64_u32 v[5:6], s[6:7], s8, v8, 0
	v_lshlrev_b64 v[1:2], 3, v[1:2]
	v_add_u32_e32 v41, 36, v44
	s_waitcnt vmcnt(6)
	v_add_co_u32_e32 v9, vcc, s18, v1
	v_addc_co_u32_e32 v10, vcc, v7, v2, vcc
	v_lshlrev_b64 v[1:2], 3, v[3:4]
	v_mov_b32_e32 v3, v6
	v_mad_u64_u32 v[3:4], s[6:7], s9, v8, v[3:4]
	v_mad_u64_u32 v[7:8], s[6:7], s8, v40, 0
	v_add_co_u32_e32 v25, vcc, v9, v1
	v_mov_b32_e32 v6, v3
	v_mov_b32_e32 v3, v8
	v_addc_co_u32_e32 v26, vcc, v10, v2, vcc
	v_lshlrev_b64 v[1:2], 3, v[5:6]
	v_mad_u64_u32 v[3:4], s[6:7], s9, v40, v[3:4]
	v_add_u32_e32 v6, 0x7e, v44
	v_mad_u64_u32 v[4:5], s[6:7], s8, v6, 0
	v_mov_b32_e32 v8, v3
	v_add_co_u32_e32 v27, vcc, v9, v1
	v_mov_b32_e32 v3, v5
	v_mad_u64_u32 v[5:6], s[6:7], s9, v6, v[3:4]
	v_addc_co_u32_e32 v28, vcc, v10, v2, vcc
	v_lshlrev_b64 v[1:2], 3, v[7:8]
	v_mad_u64_u32 v[6:7], s[6:7], s8, v41, 0
	v_add_co_u32_e32 v29, vcc, v9, v1
	v_mov_b32_e32 v3, v7
	v_addc_co_u32_e32 v30, vcc, v10, v2, vcc
	v_lshlrev_b64 v[1:2], 3, v[4:5]
	v_mad_u64_u32 v[3:4], s[6:7], s9, v41, v[3:4]
	v_add_u32_e32 v8, 0x90, v44
	v_mad_u64_u32 v[4:5], s[6:7], s8, v8, 0
	v_add_co_u32_e32 v31, vcc, v9, v1
	v_mov_b32_e32 v7, v3
	v_mov_b32_e32 v3, v5
	v_addc_co_u32_e32 v32, vcc, v10, v2, vcc
	v_lshlrev_b64 v[1:2], 3, v[6:7]
	v_mad_u64_u32 v[5:6], s[6:7], s9, v8, v[3:4]
	v_add_u32_e32 v42, 54, v44
	v_mad_u64_u32 v[6:7], s[6:7], s8, v42, 0
	v_add_co_u32_e32 v35, vcc, v9, v1
	v_mov_b32_e32 v3, v7
	v_addc_co_u32_e32 v36, vcc, v10, v2, vcc
	v_lshlrev_b64 v[1:2], 3, v[4:5]
	v_mad_u64_u32 v[3:4], s[6:7], s9, v42, v[3:4]
	v_add_u32_e32 v8, 0xa2, v44
	v_mad_u64_u32 v[4:5], s[6:7], s8, v8, 0
	v_add_co_u32_e32 v37, vcc, v9, v1
	v_mov_b32_e32 v7, v3
	v_mov_b32_e32 v3, v5
	v_addc_co_u32_e32 v38, vcc, v10, v2, vcc
	v_lshlrev_b64 v[1:2], 3, v[6:7]
	v_mad_u64_u32 v[5:6], s[6:7], s9, v8, v[3:4]
	v_add_u32_e32 v43, 0x48, v44
	;; [unrolled: 15-line block ×3, first 2 shown]
	v_mad_u64_u32 v[6:7], s[6:7], s8, v45, 0
	v_add_co_u32_e32 v50, vcc, v9, v1
	v_mov_b32_e32 v3, v7
	v_addc_co_u32_e32 v51, vcc, v10, v2, vcc
	v_lshlrev_b64 v[1:2], 3, v[4:5]
	v_mad_u64_u32 v[3:4], s[6:7], s9, v45, v[3:4]
	v_add_u32_e32 v8, 0xc6, v44
	v_mad_u64_u32 v[4:5], s[6:7], s8, v8, 0
	v_add_co_u32_e32 v52, vcc, v9, v1
	v_mov_b32_e32 v7, v3
	v_mov_b32_e32 v3, v5
	v_addc_co_u32_e32 v53, vcc, v10, v2, vcc
	v_lshlrev_b64 v[1:2], 3, v[6:7]
	v_mad_u64_u32 v[5:6], s[6:7], s9, v8, v[3:4]
	v_add_co_u32_e32 v54, vcc, v9, v1
	v_addc_co_u32_e32 v55, vcc, v10, v2, vcc
	v_lshlrev_b64 v[1:2], 3, v[4:5]
	v_add_co_u32_e32 v56, vcc, v9, v1
	v_addc_co_u32_e32 v57, vcc, v10, v2, vcc
	global_load_dwordx2 v[5:6], v[25:26], off
	global_load_dwordx2 v[7:8], v[27:28], off
	;; [unrolled: 1-line block ×12, first 2 shown]
.LBB0_14:
	s_waitcnt vmcnt(10)
	v_sub_f32_e32 v7, v5, v7
	v_sub_f32_e32 v8, v6, v8
	v_lshlrev_b32_e32 v25, 7, v44
	v_lshlrev_b32_e32 v48, 3, v39
	v_fma_f32 v5, v5, 2.0, -v7
	v_fma_f32 v6, v6, 2.0, -v8
	v_add3_u32 v25, 0, v25, v48
	s_waitcnt vmcnt(8)
	v_sub_f32_e32 v3, v1, v3
	v_sub_f32_e32 v4, v2, v4
	ds_write2_b64 v25, v[5:6], v[7:8] offset1:8
	v_lshlrev_b32_e32 v5, 7, v40
	v_fma_f32 v1, v1, 2.0, -v3
	v_fma_f32 v2, v2, 2.0, -v4
	v_add3_u32 v5, 0, v5, v48
	ds_write2_b64 v5, v[1:2], v[3:4] offset1:8
	v_lshlrev_b32_e32 v1, 7, v41
	s_waitcnt vmcnt(6)
	v_sub_f32_e32 v9, v17, v9
	v_sub_f32_e32 v10, v18, v10
	s_waitcnt vmcnt(4)
	v_sub_f32_e32 v11, v13, v11
	v_sub_f32_e32 v12, v14, v12
	v_add3_u32 v26, 0, v1, v48
	v_lshlrev_b32_e32 v1, 7, v42
	v_fma_f32 v17, v17, 2.0, -v9
	v_fma_f32 v18, v18, 2.0, -v10
	;; [unrolled: 1-line block ×4, first 2 shown]
	v_add3_u32 v1, 0, v1, v48
	ds_write2_b64 v26, v[17:18], v[9:10] offset1:8
	ds_write2_b64 v1, v[13:14], v[11:12] offset1:8
	v_lshlrev_b32_e32 v1, 7, v43
	s_waitcnt vmcnt(2)
	v_sub_f32_e32 v23, v21, v23
	v_sub_f32_e32 v24, v22, v24
	s_waitcnt vmcnt(0)
	v_sub_f32_e32 v19, v15, v19
	v_sub_f32_e32 v20, v16, v20
	v_add3_u32 v9, 0, v1, v48
	v_lshlrev_b32_e32 v1, 7, v45
	v_fma_f32 v21, v21, 2.0, -v23
	v_fma_f32 v22, v22, 2.0, -v24
	;; [unrolled: 1-line block ×4, first 2 shown]
	v_add3_u32 v1, 0, v1, v48
	v_bfe_u32 v27, v0, 3, 1
	ds_write2_b64 v9, v[21:22], v[23:24] offset1:8
	ds_write2_b64 v1, v[15:16], v[19:20] offset1:8
	v_mul_u32_u24_e32 v1, 5, v27
	v_lshlrev_b32_e32 v10, 3, v1
	s_waitcnt lgkmcnt(0)
	s_barrier
	global_load_dwordx4 v[1:4], v10, s[14:15]
	global_load_dwordx4 v[5:8], v10, s[14:15] offset:16
	global_load_dwordx2 v[13:14], v10, s[14:15] offset:32
	v_lshlrev_b32_e32 v10, 6, v44
	v_lshlrev_b32_e32 v12, 6, v43
	v_sub_u32_e32 v46, v25, v10
	v_lshlrev_b32_e32 v11, 6, v41
	v_lshlrev_b32_e32 v15, 6, v40
	v_sub_u32_e32 v50, v9, v12
	v_add_u32_e32 v9, 0x1400, v46
	v_add3_u32 v49, 0, v15, v48
	v_sub_u32_e32 v47, v26, v11
	ds_read_b64 v[15:16], v50
	ds_read_b64 v[17:18], v49
	;; [unrolled: 1-line block ×3, first 2 shown]
	ds_read_b64 v[21:22], v46 offset:12672
	ds_read_b64 v[23:24], v46 offset:3456
	ds_read_b64 v[25:26], v46
	ds_read2_b64 v[9:12], v9 offset0:80 offset1:224
	v_add_u32_e32 v28, 0x1e00, v46
	v_cmp_gt_u32_e32 vcc, 48, v0
	s_waitcnt vmcnt(2) lgkmcnt(4)
	v_mul_f32_e32 v29, v2, v20
	v_mul_f32_e32 v30, v2, v19
	;; [unrolled: 1-line block ×4, first 2 shown]
	s_waitcnt lgkmcnt(2)
	v_mul_f32_e32 v35, v24, v2
	v_mul_f32_e32 v36, v23, v2
	s_waitcnt lgkmcnt(0)
	v_mul_f32_e32 v2, v10, v4
	v_mul_f32_e32 v37, v9, v4
	v_fma_f32 v19, v1, v19, -v29
	v_fmac_f32_e32 v30, v1, v20
	v_fma_f32 v15, v3, v15, -v31
	v_fmac_f32_e32 v32, v3, v16
	;; [unrolled: 2-line block ×4, first 2 shown]
	ds_read2_b64 v[1:4], v28 offset0:48 offset1:192
	s_waitcnt vmcnt(1)
	v_mul_f32_e32 v9, v6, v12
	v_fma_f32 v23, v5, v11, -v9
	v_mul_f32_e32 v24, v6, v11
	v_fmac_f32_e32 v24, v5, v12
	s_waitcnt lgkmcnt(0)
	v_mul_f32_e32 v9, v8, v4
	v_fma_f32 v28, v7, v3, -v9
	v_mul_f32_e32 v3, v8, v3
	v_fmac_f32_e32 v3, v7, v4
	v_add_u32_e32 v4, 0x2800, v46
	ds_read2_b64 v[9:12], v4 offset0:16 offset1:160
	v_mul_f32_e32 v4, v2, v6
	v_fma_f32 v29, v1, v5, -v4
	v_mul_f32_e32 v31, v1, v6
	s_waitcnt vmcnt(0)
	v_mul_f32_e32 v4, v22, v14
	s_waitcnt lgkmcnt(0)
	v_mul_f32_e32 v1, v10, v8
	v_fma_f32 v35, v9, v7, -v1
	v_mul_f32_e32 v1, v12, v14
	v_mul_f32_e32 v38, v9, v8
	v_fma_f32 v1, v11, v13, -v1
	v_fmac_f32_e32 v31, v2, v5
	v_fmac_f32_e32 v38, v10, v7
	v_mul_f32_e32 v2, v11, v14
	v_fma_f32 v51, v21, v13, -v4
	v_add_f32_e32 v4, v26, v32
	v_add_f32_e32 v7, v23, v1
	v_fmac_f32_e32 v2, v12, v13
	v_add_f32_e32 v10, v4, v3
	v_add_f32_e32 v4, v19, v23
	v_fmac_f32_e32 v19, -0.5, v7
	v_add_f32_e32 v7, v30, v24
	v_sub_f32_e32 v5, v32, v3
	v_add_f32_e32 v3, v32, v3
	v_add_f32_e32 v11, v7, v2
	v_sub_f32_e32 v7, v24, v2
	v_add_f32_e32 v2, v24, v2
	v_fmac_f32_e32 v26, -0.5, v3
	v_add_f32_e32 v3, v25, v15
	v_fmac_f32_e32 v30, -0.5, v2
	v_add_f32_e32 v9, v3, v28
	v_add_f32_e32 v3, v15, v28
	;; [unrolled: 1-line block ×3, first 2 shown]
	v_sub_f32_e32 v8, v23, v1
	v_mov_b32_e32 v1, v19
	v_mov_b32_e32 v2, v30
	v_lshrrev_b32_e32 v24, 4, v0
	v_mul_f32_e32 v21, v21, v14
	v_sub_f32_e32 v6, v15, v28
	v_fmac_f32_e32 v1, 0x3f5db3d7, v7
	v_fmac_f32_e32 v2, 0xbf5db3d7, v8
	v_fma_f32 v15, -0.5, v3, v25
	v_mul_u32_u24_e32 v24, 12, v24
	v_fmac_f32_e32 v21, v22, v13
	v_mul_f32_e32 v13, 0x3f5db3d7, v2
	v_mul_f32_e32 v14, 0xbf5db3d7, v1
	v_mov_b32_e32 v22, v15
	v_mov_b32_e32 v23, v26
	v_or_b32_e32 v24, v24, v27
	v_fmac_f32_e32 v13, 0.5, v1
	v_fmac_f32_e32 v14, 0.5, v2
	v_fmac_f32_e32 v22, 0x3f5db3d7, v5
	v_fmac_f32_e32 v23, 0xbf5db3d7, v6
	v_lshlrev_b32_e32 v24, 6, v24
	v_add_f32_e32 v1, v9, v12
	v_add_f32_e32 v2, v10, v11
	;; [unrolled: 1-line block ×4, first 2 shown]
	v_add3_u32 v24, 0, v24, v48
	v_fmac_f32_e32 v30, 0x3f5db3d7, v8
	s_barrier
	ds_write2_b64 v24, v[1:2], v[3:4] offset1:16
	v_fmac_f32_e32 v19, 0xbf5db3d7, v7
	v_mul_f32_e32 v2, -0.5, v30
	v_fmac_f32_e32 v26, 0x3f5db3d7, v6
	v_mul_f32_e32 v1, -0.5, v19
	v_fmac_f32_e32 v2, 0xbf5db3d7, v19
	v_fmac_f32_e32 v15, 0xbf5db3d7, v5
	;; [unrolled: 1-line block ×3, first 2 shown]
	v_add_f32_e32 v6, v26, v2
	v_sub_f32_e32 v8, v26, v2
	v_add_f32_e32 v2, v37, v38
	v_add_f32_e32 v3, v29, v51
	;; [unrolled: 1-line block ×3, first 2 shown]
	v_sub_f32_e32 v7, v15, v1
	v_add_f32_e32 v1, v18, v37
	v_fmac_f32_e32 v18, -0.5, v2
	v_add_f32_e32 v2, v16, v29
	v_fmac_f32_e32 v16, -0.5, v3
	v_add_f32_e32 v3, v31, v21
	v_sub_f32_e32 v9, v9, v12
	v_sub_f32_e32 v12, v23, v14
	v_add_f32_e32 v15, v36, v31
	v_fmac_f32_e32 v36, -0.5, v3
	v_sub_f32_e32 v23, v29, v51
	v_sub_f32_e32 v19, v31, v21
	v_mov_b32_e32 v25, v36
	v_fmac_f32_e32 v36, 0x3f5db3d7, v23
	v_sub_f32_e32 v10, v10, v11
	v_sub_f32_e32 v11, v22, v13
	v_mov_b32_e32 v22, v16
	v_fmac_f32_e32 v16, 0xbf5db3d7, v19
	v_mul_f32_e32 v4, -0.5, v36
	v_add_f32_e32 v13, v20, v35
	v_mul_f32_e32 v3, -0.5, v16
	v_fmac_f32_e32 v4, 0xbf5db3d7, v16
	v_fma_f32 v16, -0.5, v13, v17
	v_add_f32_e32 v17, v17, v20
	v_sub_f32_e32 v20, v20, v35
	v_mov_b32_e32 v29, v18
	v_fmac_f32_e32 v18, 0x3f5db3d7, v20
	v_add_f32_e32 v17, v17, v35
	v_add_f32_e32 v2, v2, v51
	v_fmac_f32_e32 v25, 0xbf5db3d7, v23
	v_sub_f32_e32 v26, v37, v38
	v_mov_b32_e32 v28, v16
	v_add_f32_e32 v14, v18, v4
	v_sub_f32_e32 v4, v18, v4
	v_add_f32_e32 v18, v15, v21
	v_add_f32_e32 v15, v17, v2
	v_sub_f32_e32 v35, v17, v2
	v_fmac_f32_e32 v22, 0x3f5db3d7, v19
	v_mul_f32_e32 v2, 0x3f5db3d7, v25
	v_fmac_f32_e32 v3, 0x3f5db3d7, v36
	v_fmac_f32_e32 v16, 0xbf5db3d7, v26
	v_add_f32_e32 v1, v1, v38
	v_fmac_f32_e32 v28, 0x3f5db3d7, v26
	v_fmac_f32_e32 v2, 0.5, v22
	v_add_f32_e32 v13, v16, v3
	v_sub_f32_e32 v3, v16, v3
	v_add_f32_e32 v16, v1, v18
	v_sub_f32_e32 v36, v1, v18
	v_sub_f32_e32 v1, v28, v2
	v_add_f32_e32 v17, v28, v2
	v_lshrrev_b32_e32 v2, 1, v40
	v_fmac_f32_e32 v29, 0xbf5db3d7, v20
	v_mul_lo_u32 v20, v2, 12
	v_mul_f32_e32 v19, 0xbf5db3d7, v22
	ds_write2_b64 v24, v[5:6], v[9:10] offset0:32 offset1:48
	ds_write2_b64 v24, v[11:12], v[7:8] offset0:64 offset1:80
	v_fmac_f32_e32 v19, 0.5, v25
	v_or_b32_e32 v5, v20, v27
	v_lshlrev_b32_e32 v5, 6, v5
	v_add_f32_e32 v18, v29, v19
	v_add3_u32 v5, 0, v5, v48
	v_sub_f32_e32 v2, v29, v19
	ds_write2_b64 v5, v[15:16], v[17:18] offset1:16
	ds_write2_b64 v5, v[13:14], v[35:36] offset0:32 offset1:48
	ds_write2_b64 v5, v[1:2], v[3:4] offset0:64 offset1:80
	s_waitcnt lgkmcnt(0)
	s_barrier
	ds_read2st64_b64 v[17:20], v46 offset1:3
	ds_read2st64_b64 v[21:24], v46 offset0:6 offset1:12
	ds_read_b64 v[37:38], v50
	ds_read2st64_b64 v[25:28], v46 offset0:15 offset1:18
	ds_read2st64_b64 v[29:32], v46 offset0:21 offset1:24
                                        ; implicit-def: $vgpr6
                                        ; implicit-def: $vgpr16
                                        ; implicit-def: $vgpr12
	s_and_saveexec_b64 s[6:7], vcc
	s_cbranch_execz .LBB0_16
; %bb.15:
	v_add_u32_e32 v13, 0x80, v46
	ds_read_b64 v[35:36], v49
	ds_read2st64_b64 v[1:4], v13 offset0:5 offset1:8
	ds_read2st64_b64 v[5:8], v13 offset0:11 offset1:14
	;; [unrolled: 1-line block ×4, first 2 shown]
.LBB0_16:
	s_or_b64 exec, exec, s[6:7]
	v_mul_lo_u16_e32 v67, 22, v44
	v_mov_b32_e32 v51, 12
	v_mul_lo_u16_sdwa v51, v67, v51 dst_sel:DWORD dst_unused:UNUSED_PAD src0_sel:BYTE_1 src1_sel:DWORD
	v_sub_u16_e32 v51, v44, v51
	v_and_b32_e32 v68, 0xff, v51
	v_lshlrev_b32_e32 v69, 6, v68
	global_load_dwordx4 v[51:54], v69, s[14:15] offset:80
	global_load_dwordx4 v[55:58], v69, s[14:15] offset:96
	;; [unrolled: 1-line block ×4, first 2 shown]
	s_waitcnt lgkmcnt(4)
	v_mov_b32_e32 v71, v17
	v_mov_b32_e32 v72, v18
	s_mov_b32 s18, 0xbf248dbb
	v_mov_b32_e32 v69, v17
	v_mov_b32_e32 v70, v18
	s_movk_i32 s6, 0x6c
	s_waitcnt vmcnt(0) lgkmcnt(0)
	s_barrier
	v_mul_f32_e32 v73, v52, v20
	v_mul_f32_e32 v76, v58, v24
	;; [unrolled: 1-line block ×16, first 2 shown]
	v_fma_f32 v19, v51, v19, -v73
	v_fmac_f32_e32 v58, v57, v24
	v_fma_f32 v24, v65, v31, -v80
	v_fmac_f32_e32 v52, v51, v20
	;; [unrolled: 2-line block ×4, first 2 shown]
	v_fma_f32 v37, v57, v23, -v76
	v_fma_f32 v38, v59, v25, -v77
	v_fmac_f32_e32 v60, v59, v26
	v_fma_f32 v22, v61, v27, -v78
	v_fmac_f32_e32 v62, v61, v28
	;; [unrolled: 2-line block ×3, first 2 shown]
	v_fmac_f32_e32 v66, v65, v32
	v_sub_f32_e32 v31, v19, v24
	v_add_f32_e32 v53, v52, v66
	v_add_f32_e32 v57, v54, v64
	;; [unrolled: 1-line block ×4, first 2 shown]
	v_sub_f32_e32 v32, v52, v66
	v_sub_f32_e32 v52, v20, v23
	;; [unrolled: 1-line block ×7, first 2 shown]
	v_add_f32_e32 v65, v37, v38
	v_mul_f32_e32 v22, 0x3f248dbb, v31
	v_add_f32_e32 v51, v19, v24
	v_mul_f32_e32 v26, 0xbf248dbb, v62
	v_mul_f32_e32 v25, 0xbf248dbb, v64
	v_fmac_f32_e32 v71, 0x3f441b7d, v65
	v_fmac_f32_e32 v22, 0x3f7c1c5c, v52
	v_add_f32_e32 v66, v58, v60
	v_mul_f32_e32 v21, 0x3f248dbb, v32
	v_fmac_f32_e32 v26, 0x3f7c1c5c, v31
	v_fmac_f32_e32 v25, 0x3f7c1c5c, v32
	;; [unrolled: 1-line block ×4, first 2 shown]
	v_add_f32_e32 v55, v20, v23
	v_fmac_f32_e32 v72, 0x3f441b7d, v66
	v_fmac_f32_e32 v21, 0x3f7c1c5c, v54
	;; [unrolled: 1-line block ×5, first 2 shown]
	v_fmac_f32_e32 v71, -0.5, v59
	v_add_f32_e32 v27, v62, v31
	v_mul_f32_e32 v62, 0x3f7c1c5c, v62
	v_fmac_f32_e32 v21, 0x3f5db3d7, v56
	v_fmac_f32_e32 v26, 0x3eaf1d44, v52
	;; [unrolled: 1-line block ×5, first 2 shown]
	v_sub_f32_e32 v29, v27, v52
	v_fma_f32 v52, v52, s18, -v62
	v_fmac_f32_e32 v21, 0x3eaf1d44, v64
	v_fmac_f32_e32 v72, -0.5, v61
	v_add_f32_e32 v23, v25, v71
	v_add_f32_e32 v28, v64, v32
	;; [unrolled: 1-line block ×3, first 2 shown]
	v_mul_f32_e32 v64, 0x3f7c1c5c, v64
	v_fmac_f32_e32 v52, 0x3f5db3d7, v63
	v_fmac_f32_e32 v72, 0xbf708fb2, v57
	v_sub_f32_e32 v30, v28, v54
	v_fma_f32 v54, v54, s18, -v64
	v_fmac_f32_e32 v52, 0x3eaf1d44, v31
	v_add_f32_e32 v31, v59, v71
	v_sub_f32_e32 v24, v72, v26
	v_add_f32_e32 v72, v57, v53
	v_fmac_f32_e32 v54, 0x3f5db3d7, v56
	v_add_f32_e32 v31, v37, v31
	v_fmac_f32_e32 v54, 0x3eaf1d44, v32
	v_add_f32_e32 v32, v61, v72
	v_add_f32_e32 v31, v38, v31
	;; [unrolled: 1-line block ×5, first 2 shown]
	v_fmac_f32_e32 v17, 0x3f441b7d, v55
	v_fmac_f32_e32 v69, 0x3f441b7d, v51
	;; [unrolled: 1-line block ×3, first 2 shown]
	v_add_f32_e32 v32, v60, v32
	v_fmac_f32_e32 v17, 0x3e31d0d4, v65
	v_fmac_f32_e32 v69, 0x3e31d0d4, v55
	;; [unrolled: 1-line block ×3, first 2 shown]
	v_add_f32_e32 v28, v61, v18
	v_add_f32_e32 v32, v18, v32
	v_fmac_f32_e32 v18, 0x3f441b7d, v57
	v_fmac_f32_e32 v17, -0.5, v59
	v_fmac_f32_e32 v69, -0.5, v59
	v_fmac_f32_e32 v70, -0.5, v61
	v_fmac_f32_e32 v18, 0x3e31d0d4, v66
	v_fmac_f32_e32 v17, 0xbf708fb2, v51
	v_mul_u32_u24_sdwa v51, v67, s6 dst_sel:DWORD dst_unused:UNUSED_PAD src0_sel:BYTE_1 src1_sel:DWORD
	v_fmac_f32_e32 v69, 0xbf708fb2, v65
	v_fmac_f32_e32 v70, 0xbf708fb2, v66
	v_add_f32_e32 v73, v65, v71
	v_add_f32_e32 v74, v66, v72
	v_fmac_f32_e32 v18, -0.5, v61
	v_add_lshl_u32 v51, v51, v68, 6
	v_add_f32_e32 v19, v21, v69
	v_sub_f32_e32 v20, v70, v22
	v_fmac_f32_e32 v27, -0.5, v73
	v_fmac_f32_e32 v28, -0.5, v74
	v_fmac_f32_e32 v18, 0xbf708fb2, v53
	v_add3_u32 v51, 0, v51, v48
	v_fma_f32 v21, -2.0, v21, v19
	v_fmac_f32_e32 v27, 0x3f5db3d7, v30
	v_fmac_f32_e32 v28, 0xbf5db3d7, v29
	v_add_f32_e32 v17, v54, v17
	v_sub_f32_e32 v18, v18, v52
	ds_write2_b64 v51, v[31:32], v[19:20] offset1:96
	v_add_u32_e32 v19, 0x400, v51
	v_mul_f32_e32 v69, 0x3f5db3d7, v29
	v_mul_f32_e32 v70, 0x3f5db3d7, v30
	v_fma_f32 v37, -2.0, v54, v17
	v_fma_f32 v38, 2.0, v52, v18
	ds_write2_b64 v19, v[23:24], v[27:28] offset0:64 offset1:160
	v_add_u32_e32 v19, 0x800, v51
	v_fma_f32 v25, -2.0, v25, v23
	v_fma_f32 v26, 2.0, v26, v24
	v_fma_f32 v29, -2.0, v70, v27
	v_fma_f32 v30, 2.0, v69, v28
	ds_write2_b64 v19, v[17:18], v[37:38] offset0:128 offset1:224
	v_add_u32_e32 v17, 0x1000, v51
	v_fma_f32 v22, 2.0, v22, v20
	ds_write2_b64 v17, v[29:30], v[25:26] offset0:64 offset1:160
	ds_write_b64 v51, v[21:22] offset:6144
	s_and_saveexec_b64 s[6:7], vcc
	s_cbranch_execz .LBB0_18
; %bb.17:
	s_movk_i32 s19, 0xab
	v_mul_lo_u16_sdwa v17, v40, s19 dst_sel:DWORD dst_unused:UNUSED_PAD src0_sel:BYTE_0 src1_sel:DWORD
	v_lshrrev_b16_e32 v17, 11, v17
	v_mul_lo_u16_e32 v17, 12, v17
	v_sub_u16_e32 v17, v40, v17
	v_lshlrev_b16_e32 v17, 3, v17
	v_and_b32_e32 v17, 0xf8, v17
	v_lshlrev_b32_e32 v37, 3, v17
	global_load_dwordx4 v[17:20], v37, s[14:15] offset:80
	global_load_dwordx4 v[21:24], v37, s[14:15] offset:128
	;; [unrolled: 1-line block ×4, first 2 shown]
	v_mov_b32_e32 v38, v36
	v_mov_b32_e32 v51, v35
	s_waitcnt vmcnt(3)
	v_mul_f32_e32 v56, v4, v20
	s_waitcnt vmcnt(2)
	v_mul_f32_e32 v57, v14, v22
	s_waitcnt vmcnt(1)
	v_mul_f32_e32 v58, v8, v28
	s_waitcnt vmcnt(0)
	v_mul_f32_e32 v59, v10, v30
	v_mul_f32_e32 v22, v13, v22
	v_mul_f32_e32 v20, v3, v20
	;; [unrolled: 1-line block ×10, first 2 shown]
	v_fma_f32 v7, v7, v27, -v58
	v_fma_f32 v9, v9, v29, -v59
	v_fmac_f32_e32 v22, v14, v21
	v_fmac_f32_e32 v20, v4, v19
	v_mul_f32_e32 v24, v15, v24
	v_mul_f32_e32 v18, v1, v18
	v_fma_f32 v1, v1, v17, -v52
	v_fma_f32 v15, v15, v23, -v53
	;; [unrolled: 1-line block ×5, first 2 shown]
	v_fmac_f32_e32 v30, v10, v29
	v_fmac_f32_e32 v28, v8, v27
	;; [unrolled: 1-line block ×4, first 2 shown]
	v_sub_f32_e32 v21, v7, v9
	v_add_f32_e32 v25, v20, v22
	v_fma_f32 v11, v11, v31, -v55
	v_fmac_f32_e32 v24, v16, v23
	v_fmac_f32_e32 v18, v2, v17
	v_sub_f32_e32 v16, v1, v15
	v_sub_f32_e32 v19, v3, v13
	v_add_f32_e32 v23, v28, v30
	v_add_f32_e32 v27, v26, v32
	v_sub_f32_e32 v26, v26, v32
	v_add_f32_e32 v32, v3, v13
	v_add_f32_e32 v15, v1, v15
	v_mul_f32_e32 v1, 0x3f7c1c5c, v21
	v_fmac_f32_e32 v38, 0x3f441b7d, v25
	v_sub_f32_e32 v17, v5, v11
	v_add_f32_e32 v29, v18, v24
	v_sub_f32_e32 v20, v20, v22
	v_sub_f32_e32 v22, v28, v30
	v_add_f32_e32 v52, v5, v11
	v_add_f32_e32 v11, v32, v15
	v_fma_f32 v1, v19, s18, -v1
	v_fmac_f32_e32 v38, 0x3e31d0d4, v23
	v_mul_f32_e32 v3, 0x3f7c1c5c, v22
	v_add_f32_e32 v4, v25, v29
	v_add_f32_e32 v6, v52, v11
	v_fmac_f32_e32 v1, 0x3f5db3d7, v17
	v_fmac_f32_e32 v38, -0.5, v27
	v_fma_f32 v10, v20, s18, -v3
	v_add_f32_e32 v3, v27, v4
	v_add_f32_e32 v13, v23, v4
	;; [unrolled: 1-line block ×3, first 2 shown]
	v_fmac_f32_e32 v1, 0x3eaf1d44, v16
	v_fmac_f32_e32 v38, 0xbf708fb2, v29
	v_sub_f32_e32 v24, v18, v24
	v_add_f32_e32 v31, v7, v9
	v_add_f32_e32 v7, v9, v4
	v_sub_f32_e32 v4, v38, v1
	v_fma_f32 v8, 2.0, v1, v4
	v_add_f32_e32 v1, v22, v24
	v_add_f32_e32 v5, v21, v16
	;; [unrolled: 1-line block ×3, first 2 shown]
	v_sub_f32_e32 v9, v1, v20
	v_add_f32_e32 v1, v35, v52
	v_add_f32_e32 v11, v31, v11
	v_sub_f32_e32 v12, v5, v19
	v_fmac_f32_e32 v2, -0.5, v13
	v_fmac_f32_e32 v1, -0.5, v11
	v_mul_f32_e32 v14, 0x3f5db3d7, v12
	v_fmac_f32_e32 v2, 0xbf5db3d7, v12
	v_mul_f32_e32 v12, 0x3f5db3d7, v9
	v_fmac_f32_e32 v1, 0x3f5db3d7, v9
	v_fma_f32 v9, -2.0, v12, v1
	v_mov_b32_e32 v12, v36
	v_fmac_f32_e32 v51, 0x3f441b7d, v32
	v_mul_f32_e32 v11, 0xbf248dbb, v21
	v_fmac_f32_e32 v12, 0x3f441b7d, v23
	v_fmac_f32_e32 v51, 0x3e31d0d4, v31
	;; [unrolled: 1-line block ×5, first 2 shown]
	v_fmac_f32_e32 v51, -0.5, v52
	v_fmac_f32_e32 v11, 0xbf5db3d7, v17
	v_fmac_f32_e32 v12, -0.5, v27
	v_add_f32_e32 v3, v28, v3
	v_fmac_f32_e32 v10, 0x3eaf1d44, v24
	v_fmac_f32_e32 v51, 0xbf708fb2, v15
	;; [unrolled: 1-line block ×4, first 2 shown]
	v_add_f32_e32 v5, v30, v3
	v_add_f32_e32 v3, v10, v51
	v_sub_f32_e32 v12, v12, v11
	v_mul_f32_e32 v18, 0x3f248dbb, v16
	v_add_f32_e32 v6, v36, v5
	v_add_f32_e32 v5, v35, v7
	v_fma_f32 v7, -2.0, v10, v3
	v_fma_f32 v10, 2.0, v14, v2
	v_fma_f32 v14, 2.0, v11, v12
	v_mov_b32_e32 v11, v35
	v_fmac_f32_e32 v18, 0x3f7c1c5c, v19
	v_mul_f32_e32 v19, 0x3f248dbb, v24
	v_fmac_f32_e32 v35, 0x3f441b7d, v15
	v_fmac_f32_e32 v19, 0x3f7c1c5c, v20
	;; [unrolled: 1-line block ×3, first 2 shown]
	v_mul_f32_e32 v13, 0xbf248dbb, v22
	v_fmac_f32_e32 v36, 0x3f441b7d, v29
	v_fmac_f32_e32 v19, 0x3f5db3d7, v26
	v_fmac_f32_e32 v35, -0.5, v52
	v_fmac_f32_e32 v13, 0x3f7c1c5c, v24
	v_fmac_f32_e32 v11, 0x3f441b7d, v31
	;; [unrolled: 1-line block ×8, first 2 shown]
	v_fmac_f32_e32 v36, -0.5, v27
	v_add_f32_e32 v15, v19, v35
	v_fmac_f32_e32 v13, 0x3eaf1d44, v20
	v_fmac_f32_e32 v11, -0.5, v52
	v_fmac_f32_e32 v18, 0x3eaf1d44, v21
	v_fmac_f32_e32 v36, 0xbf708fb2, v23
	v_add3_u32 v20, 0, v37, v48
	v_mov_b32_e32 v17, v15
	v_fmac_f32_e32 v11, 0xbf708fb2, v32
	v_sub_f32_e32 v16, v36, v18
	v_fmac_f32_e32 v17, -2.0, v19
	v_add_u32_e32 v19, 0x1800, v20
	v_add_f32_e32 v11, v13, v11
	ds_write2_b64 v19, v[5:6], v[15:16] offset0:96 offset1:192
	v_add_u32_e32 v5, 0x2000, v20
	ds_write2_b64 v5, v[11:12], v[1:2] offset0:32 offset1:128
	v_add_u32_e32 v1, 0x2400, v20
	v_fma_f32 v13, -2.0, v13, v11
	ds_write2_b64 v1, v[3:4], v[7:8] offset0:96 offset1:192
	v_add_u32_e32 v1, 0x2c00, v20
	v_fma_f32 v18, 2.0, v18, v16
	ds_write2_b64 v1, v[9:10], v[13:14] offset0:32 offset1:128
	ds_write_b64 v20, v[17:18] offset:13056
.LBB0_18:
	s_or_b64 exec, exec, s[6:7]
	v_cmp_gt_u64_e32 vcc, s[16:17], v[33:34]
	s_waitcnt lgkmcnt(0)
	s_or_b64 s[0:1], s[0:1], vcc
	s_barrier
	s_and_saveexec_b64 s[6:7], s[0:1]
	s_cbranch_execz .LBB0_20
; %bb.19:
	v_mov_b32_e32 v1, 19
	v_mul_lo_u16_sdwa v1, v45, v1 dst_sel:DWORD dst_unused:UNUSED_PAD src0_sel:BYTE_0 src1_sel:DWORD
	v_lshrrev_b16_e32 v1, 11, v1
	v_mul_lo_u16_e32 v1, 0x6c, v1
	v_sub_u16_e32 v1, v45, v1
	v_and_b32_e32 v10, 0xff, v1
	v_add_u32_e32 v2, 0x6c, v10
	v_mul_lo_u32 v2, v33, v2
	s_load_dwordx2 s[0:1], s[4:5], 0x8
	v_mul_lo_u32 v8, v33, v10
	v_lshlrev_b32_e32 v1, 3, v10
	global_load_dwordx2 v[3:4], v1, s[14:15] offset:848
	v_mov_b32_e32 v11, 3
	v_lshlrev_b32_sdwa v1, v11, v2 dst_sel:DWORD dst_unused:UNUSED_PAD src0_sel:DWORD src1_sel:BYTE_0
	v_lshlrev_b32_sdwa v7, v11, v2 dst_sel:DWORD dst_unused:UNUSED_PAD src0_sel:DWORD src1_sel:BYTE_1
	v_mov_b32_e32 v12, 0x1000
	s_waitcnt lgkmcnt(0)
	global_load_dwordx2 v[5:6], v1, s[0:1]
	global_load_dwordx2 v[18:19], v7, s[0:1] offset:2048
	v_bfe_u32 v1, v8, 16, 8
	v_bfe_u32 v2, v2, 16, 8
	v_lshl_or_b32 v1, v1, 3, v12
	v_lshl_or_b32 v2, v2, 3, v12
	global_load_dwordx2 v[20:21], v1, s[0:1]
	global_load_dwordx2 v[22:23], v2, s[0:1]
	v_lshlrev_b32_sdwa v1, v11, v8 dst_sel:DWORD dst_unused:UNUSED_PAD src0_sel:DWORD src1_sel:BYTE_0
	s_movk_i32 s4, 0x120
	v_lshlrev_b32_sdwa v2, v11, v8 dst_sel:DWORD dst_unused:UNUSED_PAD src0_sel:DWORD src1_sel:BYTE_1
	global_load_dwordx2 v[24:25], v1, s[0:1]
	global_load_dwordx2 v[26:27], v2, s[0:1] offset:2048
	v_subrev_u32_e32 v1, 36, v44
	v_cmp_gt_u32_e32 vcc, s4, v0
	v_mov_b32_e32 v2, 0
	v_cndmask_b32_e32 v1, v1, v43, vcc
	v_lshlrev_b64 v[7:8], 3, v[1:2]
	v_mov_b32_e32 v13, s15
	v_add_co_u32_e32 v7, vcc, s14, v7
	v_addc_co_u32_e32 v8, vcc, v13, v8, vcc
	global_load_dwordx2 v[28:29], v[7:8], off offset:848
	v_add_u32_e32 v7, 0x6c, v1
	v_mul_lo_u32 v7, v33, v7
	s_movk_i32 s4, 0x1b0
	v_lshlrev_b32_e32 v8, 6, v45
	v_cmp_gt_u32_e32 vcc, s4, v0
	v_bfe_u32 v9, v7, 16, 8
	v_lshlrev_b32_sdwa v14, v11, v7 dst_sel:DWORD dst_unused:UNUSED_PAD src0_sel:DWORD src1_sel:BYTE_0
	v_lshlrev_b32_sdwa v7, v11, v7 dst_sel:DWORD dst_unused:UNUSED_PAD src0_sel:DWORD src1_sel:BYTE_1
	v_lshl_or_b32 v9, v9, 3, v12
	global_load_dwordx2 v[30:31], v9, s[0:1]
	global_load_dwordx2 v[34:35], v14, s[0:1]
	global_load_dwordx2 v[36:37], v7, s[0:1] offset:2048
	v_add_u32_e32 v7, 0x2c00, v46
	v_subrev_u32_e32 v9, 54, v44
	v_add3_u32 v32, 0, v8, v48
	ds_read2_b64 v[14:17], v7 offset0:32 offset1:176
	v_cndmask_b32_e32 v7, v9, v42, vcc
	v_mov_b32_e32 v8, v2
	v_mul_lo_u32 v38, v33, v1
	v_lshlrev_b64 v[8:9], 3, v[7:8]
	ds_read_b64 v[51:52], v32
	v_add_co_u32_e32 v8, vcc, s14, v8
	v_lshlrev_b32_sdwa v57, v11, v38 dst_sel:DWORD dst_unused:UNUSED_PAD src0_sel:DWORD src1_sel:BYTE_0
	v_lshlrev_b32_sdwa v58, v11, v38 dst_sel:DWORD dst_unused:UNUSED_PAD src0_sel:DWORD src1_sel:BYTE_1
	v_addc_co_u32_e32 v9, vcc, v13, v9, vcc
	global_load_dwordx2 v[53:54], v57, s[0:1]
	global_load_dwordx2 v[55:56], v58, s[0:1] offset:2048
	v_add_u32_e32 v32, 0x6c, v7
	global_load_dwordx2 v[57:58], v[8:9], off offset:848
	v_bfe_u32 v8, v38, 16, 8
	v_lshl_or_b32 v8, v8, 3, v12
	global_load_dwordx2 v[59:60], v8, s[0:1]
	v_mul_lo_u32 v32, v33, v32
	s_movk_i32 s4, 0x240
	v_cmp_gt_u32_e32 vcc, s4, v0
	s_movk_i32 s4, 0x2d0
	v_bfe_u32 v9, v32, 16, 8
	v_lshl_or_b32 v9, v9, 3, v12
	v_lshlrev_b32_sdwa v8, v11, v32 dst_sel:DWORD dst_unused:UNUSED_PAD src0_sel:DWORD src1_sel:BYTE_0
	v_lshlrev_b32_sdwa v32, v11, v32 dst_sel:DWORD dst_unused:UNUSED_PAD src0_sel:DWORD src1_sel:BYTE_1
	v_mov_b32_e32 v64, v2
	s_waitcnt vmcnt(14) lgkmcnt(1)
	v_mul_f32_e32 v38, v16, v4
	v_mul_f32_e32 v4, v17, v4
	v_fmac_f32_e32 v38, v17, v3
	v_fma_f32 v3, v16, v3, -v4
	s_waitcnt lgkmcnt(0)
	v_sub_f32_e32 v17, v51, v3
	s_waitcnt vmcnt(12)
	v_mul_f32_e32 v3, v6, v19
	v_mul_f32_e32 v4, v5, v19
	v_fma_f32 v3, v5, v18, -v3
	v_fmac_f32_e32 v4, v6, v18
	v_sub_f32_e32 v16, v52, v38
	s_waitcnt vmcnt(10)
	v_mul_f32_e32 v5, v4, v23
	v_mul_f32_e32 v6, v3, v23
	v_fma_f32 v3, v22, v3, -v5
	v_fmac_f32_e32 v6, v22, v4
	global_load_dwordx2 v[18:19], v9, s[0:1]
	global_load_dwordx2 v[22:23], v8, s[0:1]
	global_load_dwordx2 v[61:62], v32, s[0:1] offset:2048
	v_mul_f32_e32 v4, v17, v6
	v_mul_f32_e32 v5, v16, v6
	s_waitcnt vmcnt(11)
	v_mul_f32_e32 v6, v24, v27
	v_fmac_f32_e32 v4, v16, v3
	v_fma_f32 v3, v17, v3, -v5
	v_mul_f32_e32 v5, v25, v27
	v_fmac_f32_e32 v6, v25, v26
	v_fma_f32 v5, v24, v26, -v5
	v_mul_f32_e32 v8, v6, v21
	v_fma_f32 v8, v20, v5, -v8
	v_mul_f32_e32 v5, v5, v21
	v_fma_f32 v38, v52, 2.0, -v16
	v_fma_f32 v9, v51, 2.0, -v17
	v_fmac_f32_e32 v5, v20, v6
	v_mul_f32_e32 v6, v9, v5
	v_mul_f32_e32 v5, v38, v5
	v_fmac_f32_e32 v6, v38, v8
	v_fma_f32 v5, v9, v8, -v5
	v_mul_lo_u32 v8, v33, v7
	ds_read_b64 v[16:17], v50
	s_waitcnt vmcnt(10)
	v_mul_f32_e32 v9, v29, v14
	v_fmac_f32_e32 v9, v28, v15
	v_bfe_u32 v20, v8, 16, 8
	v_lshlrev_b32_sdwa v38, v11, v8 dst_sel:DWORD dst_unused:UNUSED_PAD src0_sel:DWORD src1_sel:BYTE_0
	v_lshl_or_b32 v32, v20, 3, v12
	v_lshlrev_b32_sdwa v8, v11, v8 dst_sel:DWORD dst_unused:UNUSED_PAD src0_sel:DWORD src1_sel:BYTE_1
	global_load_dwordx2 v[20:21], v38, s[0:1]
	global_load_dwordx2 v[24:25], v8, s[0:1] offset:2048
	global_load_dwordx2 v[26:27], v32, s[0:1]
	v_mul_f32_e32 v15, v29, v15
	v_fma_f32 v14, v28, v14, -v15
	v_add_u32_e32 v28, 0xffffffb8, v44
	v_cndmask_b32_e32 v28, v28, v41, vcc
	ds_read_b32 v32, v50
	ds_read_b64 v[50:51], v49
	ds_read_b32 v38, v49
	s_waitcnt lgkmcnt(3)
	v_sub_f32_e32 v49, v17, v9
	s_waitcnt vmcnt(10)
	v_mul_f32_e32 v9, v34, v37
	v_add_u32_e32 v29, 0x6c, v28
	v_mul_f32_e32 v8, v35, v37
	v_fmac_f32_e32 v9, v35, v36
	v_mul_lo_u32 v29, v33, v29
	v_fma_f32 v8, v34, v36, -v8
	v_mul_f32_e32 v34, v9, v31
	v_fma_f32 v15, v17, 2.0, -v49
	s_waitcnt vmcnt(8)
	v_mul_f32_e32 v17, v53, v56
	v_fma_f32 v34, v30, v8, -v34
	v_sub_f32_e32 v14, v16, v14
	v_mul_f32_e32 v8, v8, v31
	v_mul_f32_e32 v16, v54, v56
	v_fmac_f32_e32 v17, v54, v55
	v_fmac_f32_e32 v8, v30, v9
	v_fma_f32 v16, v53, v55, -v16
	s_waitcnt vmcnt(6)
	v_mul_f32_e32 v30, v17, v60
	v_mul_f32_e32 v9, v14, v8
	v_fma_f32 v54, v59, v16, -v30
	v_bfe_u32 v30, v29, 16, 8
	v_fmac_f32_e32 v9, v49, v34
	v_mul_f32_e32 v8, v49, v8
	v_lshl_or_b32 v49, v30, 3, v12
	v_lshlrev_b32_sdwa v52, v11, v29 dst_sel:DWORD dst_unused:UNUSED_PAD src0_sel:DWORD src1_sel:BYTE_0
	v_lshlrev_b32_sdwa v29, v11, v29 dst_sel:DWORD dst_unused:UNUSED_PAD src0_sel:DWORD src1_sel:BYTE_1
	v_fma_f32 v8, v14, v34, -v8
	global_load_dwordx2 v[30:31], v49, s[0:1]
	global_load_dwordx2 v[34:35], v52, s[0:1]
	global_load_dwordx2 v[36:37], v29, s[0:1] offset:2048
	s_waitcnt lgkmcnt(2)
	v_fma_f32 v29, v32, 2.0, -v14
	v_mul_f32_e32 v14, v16, v60
	v_fmac_f32_e32 v14, v59, v17
	v_mul_f32_e32 v49, v29, v14
	v_mul_f32_e32 v32, v15, v14
	v_add_u32_e32 v14, 0x2400, v46
	v_fmac_f32_e32 v49, v15, v54
	ds_read2_b64 v[14:17], v14 offset1:144
	v_lshlrev_b32_e32 v52, 6, v42
	v_add3_u32 v55, 0, v52, v48
	ds_read_b64 v[52:53], v55
	v_fma_f32 v48, v29, v54, -v32
	ds_read_b32 v32, v55
	s_waitcnt lgkmcnt(2)
	v_mul_f32_e32 v29, v58, v16
	v_fmac_f32_e32 v29, v57, v17
	s_waitcnt lgkmcnt(1)
	v_sub_f32_e32 v54, v53, v29
	v_mul_f32_e32 v17, v58, v17
	v_fma_f32 v16, v57, v16, -v17
	v_sub_f32_e32 v52, v52, v16
	s_waitcnt vmcnt(6)
	v_mul_f32_e32 v29, v23, v62
	v_fma_f32 v29, v22, v61, -v29
	v_mul_f32_e32 v22, v22, v62
	v_fmac_f32_e32 v22, v23, v61
	v_mul_f32_e32 v23, v22, v19
	v_fma_f32 v23, v18, v29, -v23
	v_mul_f32_e32 v55, v29, v19
	v_mov_b32_e32 v29, v2
	v_lshlrev_b64 v[16:17], 3, v[28:29]
	v_fmac_f32_e32 v55, v18, v22
	v_add_co_u32_e32 v16, vcc, s14, v16
	v_addc_co_u32_e32 v17, vcc, v13, v17, vcc
	global_load_dwordx2 v[16:17], v[16:17], off offset:848
	s_waitcnt lgkmcnt(0)
	v_fma_f32 v73, v32, 2.0, -v52
	v_mul_f32_e32 v19, v52, v55
	v_mul_f32_e32 v18, v54, v55
	v_fmac_f32_e32 v19, v54, v23
	v_fma_f32 v18, v52, v23, -v18
	v_cmp_gt_u32_e32 vcc, s4, v0
	v_fma_f32 v29, v53, 2.0, -v54
	v_mov_b32_e32 v53, v2
	s_movk_i32 s4, 0x360
	s_waitcnt vmcnt(5)
	v_mul_f32_e32 v22, v21, v25
	v_fma_f32 v22, v20, v24, -v22
	v_mul_f32_e32 v20, v20, v25
	v_fmac_f32_e32 v20, v21, v24
	v_mul_lo_u32 v24, v33, v28
	s_waitcnt vmcnt(4)
	v_mul_f32_e32 v32, v22, v27
	v_mul_f32_e32 v21, v20, v27
	v_fmac_f32_e32 v32, v26, v20
	v_bfe_u32 v20, v24, 16, 8
	v_lshl_or_b32 v20, v20, 3, v12
	v_fma_f32 v72, v26, v22, -v21
	global_load_dwordx2 v[22:23], v20, s[0:1]
	v_lshlrev_b32_sdwa v20, v11, v24 dst_sel:DWORD dst_unused:UNUSED_PAD src0_sel:DWORD src1_sel:BYTE_0
	v_lshlrev_b32_sdwa v52, v11, v24 dst_sel:DWORD dst_unused:UNUSED_PAD src0_sel:DWORD src1_sel:BYTE_1
	global_load_dwordx2 v[24:25], v20, s[0:1]
	global_load_dwordx2 v[26:27], v52, s[0:1] offset:2048
	v_add_u32_e32 v20, 0xffffffa6, v44
	v_cndmask_b32_e32 v52, v20, v40, vcc
	v_add_u32_e32 v20, 0x6c, v52
	v_mul_lo_u32 v20, v33, v20
	v_mul_f32_e32 v21, v73, v32
	v_lshlrev_b64 v[53:54], 3, v[52:53]
	v_fmac_f32_e32 v21, v29, v72
	v_mul_f32_e32 v29, v29, v32
	v_mul_lo_u32 v32, v33, v52
	v_add_co_u32_e32 v53, vcc, s14, v53
	v_bfe_u32 v55, v20, 16, 8
	v_addc_co_u32_e32 v54, vcc, v13, v54, vcc
	v_lshl_or_b32 v61, v55, 3, v12
	v_lshlrev_b32_sdwa v62, v11, v20 dst_sel:DWORD dst_unused:UNUSED_PAD src0_sel:DWORD src1_sel:BYTE_0
	v_lshlrev_b32_sdwa v20, v11, v20 dst_sel:DWORD dst_unused:UNUSED_PAD src0_sel:DWORD src1_sel:BYTE_1
	global_load_dwordx2 v[53:54], v[53:54], off offset:848
	s_nop 0
	global_load_dwordx2 v[55:56], v61, s[0:1]
	global_load_dwordx2 v[57:58], v62, s[0:1]
	global_load_dwordx2 v[59:60], v20, s[0:1] offset:2048
	s_waitcnt vmcnt(8)
	v_mul_f32_e32 v20, v35, v37
	v_fma_f32 v74, v34, v36, -v20
	v_bfe_u32 v20, v32, 16, 8
	v_mul_f32_e32 v75, v34, v37
	v_lshl_or_b32 v20, v20, 3, v12
	v_fmac_f32_e32 v75, v35, v36
	global_load_dwordx2 v[34:35], v20, s[0:1]
	v_lshlrev_b32_sdwa v20, v11, v32 dst_sel:DWORD dst_unused:UNUSED_PAD src0_sel:DWORD src1_sel:BYTE_0
	v_lshlrev_b32_sdwa v32, v11, v32 dst_sel:DWORD dst_unused:UNUSED_PAD src0_sel:DWORD src1_sel:BYTE_1
	global_load_dwordx2 v[36:37], v20, s[0:1]
	global_load_dwordx2 v[61:62], v32, s[0:1] offset:2048
	v_add_u32_e32 v20, 0xffffff94, v44
	v_cmp_gt_u32_e32 vcc, s4, v0
	v_cndmask_b32_e32 v63, v20, v44, vcc
	v_add_u32_e32 v2, 0x6c, v63
	v_mul_lo_u32 v2, v33, v2
	v_lshlrev_b64 v[64:65], 3, v[63:64]
	v_mul_lo_u32 v44, v33, v63
	v_add_co_u32_e32 v64, vcc, s14, v64
	v_addc_co_u32_e32 v65, vcc, v13, v65, vcc
	v_bfe_u32 v13, v2, 16, 8
	v_lshlrev_b32_sdwa v20, v11, v2 dst_sel:DWORD dst_unused:UNUSED_PAD src0_sel:DWORD src1_sel:BYTE_0
	v_lshlrev_b32_sdwa v2, v11, v2 dst_sel:DWORD dst_unused:UNUSED_PAD src0_sel:DWORD src1_sel:BYTE_1
	global_load_dwordx2 v[64:65], v[64:65], off offset:848
	s_nop 0
	global_load_dwordx2 v[32:33], v20, s[0:1]
	global_load_dwordx2 v[66:67], v2, s[0:1] offset:2048
	v_bfe_u32 v2, v44, 16, 8
	v_lshl_or_b32 v13, v13, 3, v12
	v_lshl_or_b32 v2, v2, 3, v12
	v_mul_f32_e32 v12, v75, v31
	global_load_dwordx2 v[68:69], v2, s[0:1]
	global_load_dwordx2 v[70:71], v13, s[0:1]
	v_fma_f32 v13, v30, v74, -v12
	v_fma_f32 v20, v73, v72, -v29
	s_waitcnt vmcnt(15)
	v_mul_f32_e32 v12, v17, v15
	v_mul_f32_e32 v2, v17, v14
	v_fma_f32 v14, v16, v14, -v12
	v_lshlrev_b32_sdwa v12, v11, v44 dst_sel:DWORD dst_unused:UNUSED_PAD src0_sel:DWORD src1_sel:BYTE_0
	v_fmac_f32_e32 v2, v16, v15
	v_lshlrev_b32_sdwa v11, v11, v44 dst_sel:DWORD dst_unused:UNUSED_PAD src0_sel:DWORD src1_sel:BYTE_1
	global_load_dwordx2 v[15:16], v12, s[0:1]
	global_load_dwordx2 v[72:73], v11, s[0:1] offset:2048
	ds_read_b64 v[11:12], v47
	v_mul_f32_e32 v17, v74, v31
	v_fmac_f32_e32 v17, v30, v75
	ds_read_b32 v31, v47
	ds_read_b64 v[29:30], v46
	ds_read_b32 v44, v46
	s_waitcnt lgkmcnt(3)
	v_sub_f32_e32 v2, v12, v2
	v_sub_f32_e32 v11, v11, v14
	v_mul_f32_e32 v75, v11, v17
	v_mul_f32_e32 v14, v2, v17
	v_fmac_f32_e32 v75, v2, v13
	v_fma_f32 v74, v11, v13, -v14
	v_fma_f32 v2, v12, 2.0, -v2
	s_waitcnt vmcnt(14)
	v_mul_f32_e32 v12, v25, v27
	v_mul_f32_e32 v13, v24, v27
	v_fma_f32 v12, v24, v26, -v12
	v_fmac_f32_e32 v13, v25, v26
	v_mul_f32_e32 v14, v13, v23
	s_waitcnt lgkmcnt(2)
	v_fma_f32 v24, v31, 2.0, -v11
	v_mul_f32_e32 v25, v12, v23
	v_add_u32_e32 v11, 0x1800, v46
	v_fma_f32 v17, v22, v12, -v14
	v_fmac_f32_e32 v25, v22, v13
	ds_read2_b64 v[11:14], v11 offset0:96 offset1:240
	v_mul_f32_e32 v23, v24, v25
	v_fmac_f32_e32 v23, v2, v17
	v_mul_f32_e32 v2, v2, v25
	v_fma_f32 v22, v24, v17, -v2
	s_waitcnt vmcnt(13) lgkmcnt(0)
	v_mul_f32_e32 v2, v54, v13
	v_fmac_f32_e32 v2, v53, v14
	s_waitcnt vmcnt(10)
	v_mul_f32_e32 v17, v58, v60
	v_mul_f32_e32 v14, v54, v14
	v_fma_f32 v17, v57, v59, -v17
	v_mul_f32_e32 v24, v57, v60
	v_fma_f32 v13, v53, v13, -v14
	v_fmac_f32_e32 v24, v58, v59
	v_sub_f32_e32 v26, v50, v13
	v_mul_f32_e32 v13, v17, v56
	v_sub_f32_e32 v2, v51, v2
	v_mul_f32_e32 v25, v24, v56
	v_fmac_f32_e32 v13, v55, v24
	s_waitcnt vmcnt(7)
	v_mul_f32_e32 v24, v36, v62
	v_fma_f32 v25, v55, v17, -v25
	v_mul_f32_e32 v14, v26, v13
	v_mul_f32_e32 v13, v2, v13
	;; [unrolled: 1-line block ×3, first 2 shown]
	v_fmac_f32_e32 v24, v37, v61
	v_fmac_f32_e32 v14, v2, v25
	v_fma_f32 v13, v26, v25, -v13
	v_fma_f32 v17, v36, v61, -v17
	v_mul_f32_e32 v25, v24, v35
	v_fma_f32 v27, v34, v17, -v25
	v_mul_f32_e32 v17, v17, v35
	v_fma_f32 v26, v38, 2.0, -v26
	v_fmac_f32_e32 v17, v34, v24
	v_fma_f32 v2, v51, 2.0, -v2
	v_mul_f32_e32 v25, v26, v17
	v_fmac_f32_e32 v25, v2, v27
	v_mul_f32_e32 v2, v2, v17
	v_fma_f32 v24, v26, v27, -v2
	s_waitcnt vmcnt(6)
	v_mul_f32_e32 v2, v65, v11
	s_waitcnt vmcnt(4)
	v_mul_f32_e32 v26, v32, v67
	v_fmac_f32_e32 v2, v64, v12
	v_mul_f32_e32 v17, v33, v67
	v_fmac_f32_e32 v26, v33, v66
	v_mul_f32_e32 v12, v65, v12
	v_fma_f32 v17, v32, v66, -v17
	s_waitcnt vmcnt(2)
	v_mul_f32_e32 v27, v26, v71
	v_fma_f32 v11, v64, v11, -v12
	v_fma_f32 v27, v70, v17, -v27
	v_sub_f32_e32 v29, v29, v11
	v_mul_f32_e32 v11, v17, v71
	s_waitcnt vmcnt(0)
	v_mul_f32_e32 v17, v16, v73
	v_sub_f32_e32 v2, v30, v2
	v_fmac_f32_e32 v11, v70, v26
	v_fma_f32 v17, v15, v72, -v17
	v_mul_f32_e32 v15, v15, v73
	v_mul_f32_e32 v12, v29, v11
	;; [unrolled: 1-line block ×3, first 2 shown]
	v_fmac_f32_e32 v15, v16, v72
	v_fmac_f32_e32 v12, v2, v27
	v_fma_f32 v11, v29, v27, -v11
	v_mul_f32_e32 v16, v15, v69
	v_mad_u64_u32 v[26:27], s[0:1], s10, v39, 0
	v_fma_f32 v34, v68, v17, -v16
	v_mul_f32_e32 v17, v17, v69
	s_movk_i32 s0, 0x35f
	v_fmac_f32_e32 v17, v68, v15
	v_mov_b32_e32 v15, 0xd8
	v_cmp_lt_u32_e32 vcc, s0, v0
	v_cndmask_b32_e32 v0, 0, v15, vcc
	v_add_u32_e32 v36, v63, v0
	v_fma_f32 v2, v30, 2.0, -v2
	v_fma_f32 v35, v44, 2.0, -v29
	v_mad_u64_u32 v[29:30], s[0:1], s8, v36, 0
	v_mov_b32_e32 v0, v27
	v_mad_u64_u32 v[31:32], s[0:1], s11, v39, v[0:1]
	v_mov_b32_e32 v0, v30
	v_mad_u64_u32 v[32:33], s[0:1], s9, v36, v[0:1]
	s_lshl_b64 s[0:1], s[2:3], 3
	v_mul_f32_e32 v16, v35, v17
	s_add_u32 s2, s12, s0
	v_fmac_f32_e32 v16, v2, v34
	v_mul_f32_e32 v0, v2, v17
	v_mov_b32_e32 v27, v31
	s_addc_u32 s0, s13, s1
	v_add_u32_e32 v2, 0x6c, v36
	v_fma_f32 v15, v35, v34, -v0
	v_mov_b32_e32 v30, v32
	v_lshlrev_b64 v[26:27], 3, v[26:27]
	v_mov_b32_e32 v0, s0
	v_mad_u64_u32 v[31:32], s[0:1], s8, v2, 0
	v_add_co_u32_e32 v33, vcc, s2, v26
	v_addc_co_u32_e32 v34, vcc, v0, v27, vcc
	v_lshlrev_b64 v[26:27], 3, v[29:30]
	v_mov_b32_e32 v0, v32
	v_mad_u64_u32 v[29:30], s[0:1], s9, v2, v[0:1]
	v_add_co_u32_e32 v26, vcc, v33, v26
	v_sub_u32_e32 v0, v40, v52
	v_addc_co_u32_e32 v27, vcc, v34, v27, vcc
	v_add_u32_e32 v2, v0, v40
	global_store_dwordx2 v[26:27], v[15:16], off
	v_mad_u64_u32 v[26:27], s[0:1], s8, v2, 0
	v_mov_b32_e32 v32, v29
	v_lshlrev_b64 v[15:16], 3, v[31:32]
	v_mov_b32_e32 v0, v27
	v_mad_u64_u32 v[29:30], s[0:1], s9, v2, v[0:1]
	v_add_u32_e32 v2, 0x6c, v2
	v_mad_u64_u32 v[30:31], s[0:1], s8, v2, 0
	v_add_co_u32_e32 v15, vcc, v33, v15
	v_addc_co_u32_e32 v16, vcc, v34, v16, vcc
	v_mov_b32_e32 v0, v31
	global_store_dwordx2 v[15:16], v[11:12], off
	v_mad_u64_u32 v[15:16], s[0:1], s9, v2, v[0:1]
	v_sub_u32_e32 v0, v41, v28
	v_add_u32_e32 v2, v0, v41
	v_mov_b32_e32 v31, v15
	v_mad_u64_u32 v[15:16], s[0:1], s8, v2, 0
	v_mov_b32_e32 v27, v29
	v_lshlrev_b64 v[11:12], 3, v[26:27]
	v_mov_b32_e32 v0, v16
	v_add_co_u32_e32 v11, vcc, v33, v11
	v_addc_co_u32_e32 v12, vcc, v34, v12, vcc
	v_mad_u64_u32 v[16:17], s[0:1], s9, v2, v[0:1]
	v_add_u32_e32 v2, 0x6c, v2
	global_store_dwordx2 v[11:12], v[24:25], off
	v_mad_u64_u32 v[24:25], s[0:1], s8, v2, 0
	v_lshlrev_b64 v[11:12], 3, v[30:31]
	v_add_co_u32_e32 v11, vcc, v33, v11
	v_addc_co_u32_e32 v12, vcc, v34, v12, vcc
	v_mov_b32_e32 v0, v25
	global_store_dwordx2 v[11:12], v[13:14], off
	v_mad_u64_u32 v[13:14], s[0:1], s9, v2, v[0:1]
	v_sub_u32_e32 v0, v42, v7
	v_add_u32_e32 v2, v0, v42
	v_mov_b32_e32 v25, v13
	v_mad_u64_u32 v[13:14], s[0:1], s8, v2, 0
	v_lshlrev_b64 v[11:12], 3, v[15:16]
	v_mov_b32_e32 v0, v14
	v_add_co_u32_e32 v11, vcc, v33, v11
	v_mad_u64_u32 v[14:15], s[0:1], s9, v2, v[0:1]
	v_add_u32_e32 v2, 0x6c, v2
	v_addc_co_u32_e32 v12, vcc, v34, v12, vcc
	v_mad_u64_u32 v[15:16], s[0:1], s8, v2, 0
	global_store_dwordx2 v[11:12], v[22:23], off
	v_lshlrev_b64 v[11:12], 3, v[24:25]
	v_mov_b32_e32 v0, v16
	v_add_co_u32_e32 v11, vcc, v33, v11
	v_addc_co_u32_e32 v12, vcc, v34, v12, vcc
	global_store_dwordx2 v[11:12], v[74:75], off
	v_lshlrev_b64 v[11:12], 3, v[13:14]
	v_mad_u64_u32 v[13:14], s[0:1], s9, v2, v[0:1]
	v_sub_u32_e32 v0, v43, v1
	v_add_u32_e32 v7, v0, v43
	v_mad_u64_u32 v[0:1], s[0:1], s8, v7, 0
	v_add_co_u32_e32 v11, vcc, v33, v11
	v_mad_u64_u32 v[1:2], s[0:1], s9, v7, v[1:2]
	v_add_u32_e32 v7, 0x6c, v7
	v_addc_co_u32_e32 v12, vcc, v34, v12, vcc
	v_mov_b32_e32 v16, v13
	v_mad_u64_u32 v[13:14], s[0:1], s8, v7, 0
	global_store_dwordx2 v[11:12], v[20:21], off
	v_lshlrev_b64 v[11:12], 3, v[15:16]
	v_mov_b32_e32 v2, v14
	v_add_co_u32_e32 v11, vcc, v33, v11
	v_addc_co_u32_e32 v12, vcc, v34, v12, vcc
	global_store_dwordx2 v[11:12], v[18:19], off
	v_mad_u64_u32 v[11:12], s[0:1], s9, v7, v[2:3]
	v_sub_u32_e32 v2, v45, v10
	v_add_u32_e32 v7, v2, v45
	v_mov_b32_e32 v14, v11
	v_mad_u64_u32 v[10:11], s[0:1], s8, v7, 0
	v_lshlrev_b64 v[0:1], 3, v[0:1]
	v_add_co_u32_e32 v0, vcc, v33, v0
	v_mov_b32_e32 v2, v11
	v_addc_co_u32_e32 v1, vcc, v34, v1, vcc
	v_mad_u64_u32 v[11:12], s[0:1], s9, v7, v[2:3]
	v_add_u32_e32 v7, 0x6c, v7
	global_store_dwordx2 v[0:1], v[48:49], off
	v_lshlrev_b64 v[0:1], 3, v[13:14]
	v_mad_u64_u32 v[12:13], s[0:1], s8, v7, 0
	v_add_co_u32_e32 v0, vcc, v33, v0
	v_addc_co_u32_e32 v1, vcc, v34, v1, vcc
	v_mov_b32_e32 v2, v13
	global_store_dwordx2 v[0:1], v[8:9], off
	v_mad_u64_u32 v[7:8], s[0:1], s9, v7, v[2:3]
	v_lshlrev_b64 v[0:1], 3, v[10:11]
	v_add_co_u32_e32 v0, vcc, v33, v0
	v_addc_co_u32_e32 v1, vcc, v34, v1, vcc
	v_mov_b32_e32 v13, v7
	global_store_dwordx2 v[0:1], v[5:6], off
	v_lshlrev_b64 v[0:1], 3, v[12:13]
	v_add_co_u32_e32 v0, vcc, v33, v0
	v_addc_co_u32_e32 v1, vcc, v34, v1, vcc
	global_store_dwordx2 v[0:1], v[3:4], off
.LBB0_20:
	s_endpgm
	.section	.rodata,"a",@progbits
	.p2align	6, 0x0
	.amdhsa_kernel fft_rtc_fwd_len216_factors_2_6_9_2_wgs_144_tpt_18_dim3_sp_ip_CI_sbcc_twdbase8_3step_dirReg
		.amdhsa_group_segment_fixed_size 0
		.amdhsa_private_segment_fixed_size 0
		.amdhsa_kernarg_size 88
		.amdhsa_user_sgpr_count 6
		.amdhsa_user_sgpr_private_segment_buffer 1
		.amdhsa_user_sgpr_dispatch_ptr 0
		.amdhsa_user_sgpr_queue_ptr 0
		.amdhsa_user_sgpr_kernarg_segment_ptr 1
		.amdhsa_user_sgpr_dispatch_id 0
		.amdhsa_user_sgpr_flat_scratch_init 0
		.amdhsa_user_sgpr_private_segment_size 0
		.amdhsa_uses_dynamic_stack 0
		.amdhsa_system_sgpr_private_segment_wavefront_offset 0
		.amdhsa_system_sgpr_workgroup_id_x 1
		.amdhsa_system_sgpr_workgroup_id_y 0
		.amdhsa_system_sgpr_workgroup_id_z 0
		.amdhsa_system_sgpr_workgroup_info 0
		.amdhsa_system_vgpr_workitem_id 0
		.amdhsa_next_free_vgpr 81
		.amdhsa_next_free_sgpr 26
		.amdhsa_reserve_vcc 1
		.amdhsa_reserve_flat_scratch 0
		.amdhsa_float_round_mode_32 0
		.amdhsa_float_round_mode_16_64 0
		.amdhsa_float_denorm_mode_32 3
		.amdhsa_float_denorm_mode_16_64 3
		.amdhsa_dx10_clamp 1
		.amdhsa_ieee_mode 1
		.amdhsa_fp16_overflow 0
		.amdhsa_exception_fp_ieee_invalid_op 0
		.amdhsa_exception_fp_denorm_src 0
		.amdhsa_exception_fp_ieee_div_zero 0
		.amdhsa_exception_fp_ieee_overflow 0
		.amdhsa_exception_fp_ieee_underflow 0
		.amdhsa_exception_fp_ieee_inexact 0
		.amdhsa_exception_int_div_zero 0
	.end_amdhsa_kernel
	.text
.Lfunc_end0:
	.size	fft_rtc_fwd_len216_factors_2_6_9_2_wgs_144_tpt_18_dim3_sp_ip_CI_sbcc_twdbase8_3step_dirReg, .Lfunc_end0-fft_rtc_fwd_len216_factors_2_6_9_2_wgs_144_tpt_18_dim3_sp_ip_CI_sbcc_twdbase8_3step_dirReg
                                        ; -- End function
	.section	.AMDGPU.csdata,"",@progbits
; Kernel info:
; codeLenInByte = 8592
; NumSgprs: 30
; NumVgprs: 81
; ScratchSize: 0
; MemoryBound: 0
; FloatMode: 240
; IeeeMode: 1
; LDSByteSize: 0 bytes/workgroup (compile time only)
; SGPRBlocks: 3
; VGPRBlocks: 20
; NumSGPRsForWavesPerEU: 30
; NumVGPRsForWavesPerEU: 81
; Occupancy: 3
; WaveLimiterHint : 1
; COMPUTE_PGM_RSRC2:SCRATCH_EN: 0
; COMPUTE_PGM_RSRC2:USER_SGPR: 6
; COMPUTE_PGM_RSRC2:TRAP_HANDLER: 0
; COMPUTE_PGM_RSRC2:TGID_X_EN: 1
; COMPUTE_PGM_RSRC2:TGID_Y_EN: 0
; COMPUTE_PGM_RSRC2:TGID_Z_EN: 0
; COMPUTE_PGM_RSRC2:TIDIG_COMP_CNT: 0
	.type	__hip_cuid_8006d51ccf9c742f,@object ; @__hip_cuid_8006d51ccf9c742f
	.section	.bss,"aw",@nobits
	.globl	__hip_cuid_8006d51ccf9c742f
__hip_cuid_8006d51ccf9c742f:
	.byte	0                               ; 0x0
	.size	__hip_cuid_8006d51ccf9c742f, 1

	.ident	"AMD clang version 19.0.0git (https://github.com/RadeonOpenCompute/llvm-project roc-6.4.0 25133 c7fe45cf4b819c5991fe208aaa96edf142730f1d)"
	.section	".note.GNU-stack","",@progbits
	.addrsig
	.addrsig_sym __hip_cuid_8006d51ccf9c742f
	.amdgpu_metadata
---
amdhsa.kernels:
  - .args:
      - .actual_access:  read_only
        .address_space:  global
        .offset:         0
        .size:           8
        .value_kind:     global_buffer
      - .address_space:  global
        .offset:         8
        .size:           8
        .value_kind:     global_buffer
      - .actual_access:  read_only
        .address_space:  global
        .offset:         16
        .size:           8
        .value_kind:     global_buffer
      - .actual_access:  read_only
        .address_space:  global
        .offset:         24
        .size:           8
        .value_kind:     global_buffer
      - .offset:         32
        .size:           8
        .value_kind:     by_value
      - .actual_access:  read_only
        .address_space:  global
        .offset:         40
        .size:           8
        .value_kind:     global_buffer
      - .actual_access:  read_only
        .address_space:  global
        .offset:         48
        .size:           8
        .value_kind:     global_buffer
      - .offset:         56
        .size:           4
        .value_kind:     by_value
      - .actual_access:  read_only
        .address_space:  global
        .offset:         64
        .size:           8
        .value_kind:     global_buffer
      - .actual_access:  read_only
        .address_space:  global
        .offset:         72
        .size:           8
        .value_kind:     global_buffer
      - .address_space:  global
        .offset:         80
        .size:           8
        .value_kind:     global_buffer
    .group_segment_fixed_size: 0
    .kernarg_segment_align: 8
    .kernarg_segment_size: 88
    .language:       OpenCL C
    .language_version:
      - 2
      - 0
    .max_flat_workgroup_size: 144
    .name:           fft_rtc_fwd_len216_factors_2_6_9_2_wgs_144_tpt_18_dim3_sp_ip_CI_sbcc_twdbase8_3step_dirReg
    .private_segment_fixed_size: 0
    .sgpr_count:     30
    .sgpr_spill_count: 0
    .symbol:         fft_rtc_fwd_len216_factors_2_6_9_2_wgs_144_tpt_18_dim3_sp_ip_CI_sbcc_twdbase8_3step_dirReg.kd
    .uniform_work_group_size: 1
    .uses_dynamic_stack: false
    .vgpr_count:     81
    .vgpr_spill_count: 0
    .wavefront_size: 64
amdhsa.target:   amdgcn-amd-amdhsa--gfx906
amdhsa.version:
  - 1
  - 2
...

	.end_amdgpu_metadata
